;; amdgpu-corpus repo=ROCm/rocFFT kind=compiled arch=gfx906 opt=O3
	.text
	.amdgcn_target "amdgcn-amd-amdhsa--gfx906"
	.amdhsa_code_object_version 6
	.protected	fft_rtc_fwd_len128_factors_8_4_4_wgs_128_tpt_16_dp_op_CI_CI_sbrc_xy_z_diag_dirReg ; -- Begin function fft_rtc_fwd_len128_factors_8_4_4_wgs_128_tpt_16_dp_op_CI_CI_sbrc_xy_z_diag_dirReg
	.globl	fft_rtc_fwd_len128_factors_8_4_4_wgs_128_tpt_16_dp_op_CI_CI_sbrc_xy_z_diag_dirReg
	.p2align	8
	.type	fft_rtc_fwd_len128_factors_8_4_4_wgs_128_tpt_16_dp_op_CI_CI_sbrc_xy_z_diag_dirReg,@function
fft_rtc_fwd_len128_factors_8_4_4_wgs_128_tpt_16_dp_op_CI_CI_sbrc_xy_z_diag_dirReg: ; @fft_rtc_fwd_len128_factors_8_4_4_wgs_128_tpt_16_dp_op_CI_CI_sbrc_xy_z_diag_dirReg
; %bb.0:
	s_load_dwordx8 s[8:15], s[4:5], 0x0
	s_waitcnt lgkmcnt(0)
	s_load_dwordx4 s[0:3], s[12:13], 0x8
	s_load_dwordx4 s[16:19], s[14:15], 0x0
	s_load_dword s20, s[14:15], 0x10
	s_waitcnt lgkmcnt(0)
	s_add_i32 s1, s2, -1
	s_lshr_b32 s1, s1, 3
	s_add_i32 s1, s1, 1
	s_mul_i32 s2, s1, s0
	v_cvt_f32_u32_e32 v1, s2
	v_rcp_iflag_f32_e32 v1, v1
	v_mul_f32_e32 v1, 0x4f7ffffe, v1
	v_cvt_u32_f32_e32 v3, v1
	v_mad_u64_u32 v[1:2], s[0:1], s16, v0, 0
	s_sub_i32 s0, 0, s2
	v_readfirstlane_b32 s1, v3
	s_mul_i32 s0, s0, s1
	s_mul_hi_u32 s0, s1, s0
	s_add_i32 s1, s1, s0
	s_mul_hi_u32 s0, s6, s1
	s_mul_i32 s1, s0, s2
	s_sub_i32 s1, s6, s1
	s_add_i32 s3, s0, 1
	s_sub_i32 s7, s1, s2
	s_cmp_ge_u32 s1, s2
	s_cselect_b32 s0, s3, s0
	s_cselect_b32 s1, s7, s1
	s_add_i32 s3, s0, 1
	s_cmp_ge_u32 s1, s2
	s_cselect_b32 s16, s3, s0
	s_mul_i32 s0, s16, s2
	s_sub_i32 s0, s6, s0
	s_and_b32 s1, s0, 15
	s_lshr_b32 s0, s0, 4
	s_add_i32 s0, s0, s1
	s_lshl_b32 s22, s1, 3
	s_and_b32 s19, s0, 0x7f
	s_mul_i32 s0, s22, s20
	s_mul_i32 s1, s19, s18
	s_lshl_b64 s[12:13], s[10:11], 3
	s_add_i32 s10, s1, s0
	s_add_u32 s6, s14, s12
	s_addc_u32 s7, s15, s13
	s_load_dwordx2 s[24:25], s[6:7], 0x0
	s_load_dwordx2 s[14:15], s[4:5], 0x20
	s_load_dwordx4 s[0:3], s[4:5], 0x58
	v_mad_u64_u32 v[2:3], s[4:5], s17, v0, v[2:3]
	s_waitcnt lgkmcnt(0)
	s_mul_i32 s4, s25, s16
	s_mul_hi_u32 s5, s24, s16
	s_add_i32 s5, s5, s4
	s_add_u32 s6, s14, s12
	s_addc_u32 s7, s15, s13
	s_load_dwordx2 s[12:13], s[6:7], 0x0
	s_mul_i32 s4, s24, s16
	s_lshl_b64 s[4:5], s[4:5], 4
	s_mov_b32 s11, 0
	v_lshlrev_b64 v[1:2], 4, v[1:2]
	s_waitcnt lgkmcnt(0)
	s_mul_i32 s6, s13, s16
	s_mul_hi_u32 s7, s12, s16
	s_add_i32 s13, s7, s6
	s_add_u32 s4, s0, s4
	s_addc_u32 s5, s1, s5
	s_lshl_b64 s[0:1], s[10:11], 4
	s_add_u32 s0, s4, s0
	s_addc_u32 s1, s5, s1
	v_mov_b32_e32 v3, s1
	v_add_co_u32_e32 v1, vcc, s0, v1
	s_mov_b32 s21, s11
	v_addc_co_u32_e32 v2, vcc, v3, v2, vcc
	s_lshl_b64 s[0:1], s[20:21], 4
	v_mov_b32_e32 v4, s1
	v_add_co_u32_e32 v3, vcc, s0, v1
	s_add_i32 s10, s20, s20
	v_addc_co_u32_e32 v4, vcc, v2, v4, vcc
	s_lshl_b64 s[0:1], s[10:11], 4
	global_load_dwordx4 v[5:8], v[1:2], off
	global_load_dwordx4 v[9:12], v[3:4], off
	s_add_i32 s10, s10, s20
	v_mov_b32_e32 v4, s1
	v_add_co_u32_e32 v3, vcc, s0, v1
	s_lshl_b64 s[4:5], s[10:11], 4
	v_addc_co_u32_e32 v4, vcc, v2, v4, vcc
	s_add_i32 s10, s10, s20
	v_mov_b32_e32 v13, s5
	v_add_co_u32_e32 v21, vcc, s4, v1
	s_lshl_b64 s[0:1], s[10:11], 4
	v_addc_co_u32_e32 v22, vcc, v2, v13, vcc
	;; [unrolled: 5-line block ×3, first 2 shown]
	s_add_i32 s10, s10, s20
	v_mov_b32_e32 v23, s5
	global_load_dwordx4 v[13:16], v[3:4], off
	global_load_dwordx4 v[17:20], v[21:22], off
	v_add_co_u32_e32 v3, vcc, s4, v1
	s_lshl_b64 s[0:1], s[10:11], 4
	v_addc_co_u32_e32 v4, vcc, v2, v23, vcc
	s_add_i32 s10, s10, s20
	v_mov_b32_e32 v21, s1
	v_add_co_u32_e32 v37, vcc, s0, v1
	s_lshl_b64 s[4:5], s[10:11], 4
	v_addc_co_u32_e32 v38, vcc, v2, v21, vcc
	v_mov_b32_e32 v31, s5
	v_add_co_u32_e32 v1, vcc, s4, v1
	global_load_dwordx4 v[21:24], v[29:30], off
	global_load_dwordx4 v[25:28], v[3:4], off
	v_addc_co_u32_e32 v2, vcc, v2, v31, vcc
	global_load_dwordx4 v[29:32], v[37:38], off
	global_load_dwordx4 v[33:36], v[1:2], off
	v_and_b32_e32 v2, 7, v0
	v_lshrrev_b32_e32 v1, 3, v0
	v_lshlrev_b32_e32 v3, 7, v1
	v_lshlrev_b32_e32 v4, 4, v2
	v_lshl_add_u32 v37, v0, 7, 0
	v_add3_u32 v3, 0, v3, v4
	s_load_dwordx4 s[4:7], s[14:15], 0x0
	s_load_dword s0, s[14:15], 0x10
	s_mov_b32 s14, 0x667f3bcd
	s_mov_b32 s15, 0xbfe6a09e
	s_mov_b32 s21, 0x3fe6a09e
	s_mov_b32 s20, s14
	s_movk_i32 s1, 0x380
	s_mul_i32 s12, s12, s16
	s_waitcnt lgkmcnt(0)
	s_mul_i32 s10, s19, s0
	s_waitcnt vmcnt(7)
	ds_write_b128 v37, v[5:8]
	s_waitcnt vmcnt(6)
	ds_write_b128 v37, v[9:12] offset:16
	s_waitcnt vmcnt(5)
	ds_write_b128 v37, v[13:16] offset:32
	;; [unrolled: 2-line block ×7, first 2 shown]
	s_waitcnt lgkmcnt(0)
	s_barrier
	ds_read_b128 v[5:8], v3 offset:12288
	ds_read_b128 v[9:12], v3
	ds_read_b128 v[13:16], v3 offset:2048
	ds_read_b128 v[17:20], v3 offset:8192
	;; [unrolled: 1-line block ×6, first 2 shown]
	s_waitcnt lgkmcnt(4)
	v_add_f64 v[19:20], v[11:12], -v[19:20]
	s_waitcnt lgkmcnt(3)
	v_add_f64 v[23:24], v[15:16], -v[23:24]
	;; [unrolled: 2-line block ×3, first 2 shown]
	v_add_f64 v[17:18], v[9:10], -v[17:18]
	s_waitcnt lgkmcnt(0)
	v_add_f64 v[33:34], v[29:30], -v[33:34]
	v_add_f64 v[7:8], v[27:28], -v[7:8]
	;; [unrolled: 1-line block ×4, first 2 shown]
	v_fma_f64 v[11:12], v[11:12], 2.0, -v[19:20]
	v_add_f64 v[43:44], v[19:20], v[5:6]
	v_fma_f64 v[9:10], v[9:10], 2.0, -v[17:18]
	v_add_f64 v[39:40], v[23:24], v[33:34]
	v_fma_f64 v[25:26], v[25:26], 2.0, -v[5:6]
	v_fma_f64 v[27:28], v[27:28], 2.0, -v[7:8]
	v_add_f64 v[41:42], v[17:18], -v[7:8]
	v_fma_f64 v[5:6], v[13:14], 2.0, -v[21:22]
	v_fma_f64 v[7:8], v[15:16], 2.0, -v[23:24]
	;; [unrolled: 1-line block ×4, first 2 shown]
	v_add_f64 v[37:38], v[21:22], -v[35:36]
	v_fma_f64 v[23:24], v[23:24], 2.0, -v[39:40]
	v_fma_f64 v[31:32], v[19:20], 2.0, -v[43:44]
	;; [unrolled: 1-line block ×3, first 2 shown]
	v_add_f64 v[33:34], v[9:10], -v[25:26]
	v_add_f64 v[35:36], v[11:12], -v[27:28]
	;; [unrolled: 1-line block ×4, first 2 shown]
	v_fma_f64 v[21:22], v[21:22], 2.0, -v[37:38]
	v_fma_f64 v[45:46], v[39:40], s[20:21], v[43:44]
	v_fma_f64 v[19:20], v[23:24], s[14:15], v[31:32]
	s_barrier
	v_fma_f64 v[25:26], v[9:10], 2.0, -v[33:34]
	v_fma_f64 v[27:28], v[11:12], 2.0, -v[35:36]
	;; [unrolled: 1-line block ×4, first 2 shown]
	v_fma_f64 v[15:16], v[21:22], s[14:15], v[29:30]
	v_add_f64 v[17:18], v[33:34], -v[17:18]
	v_fma_f64 v[7:8], v[21:22], s[20:21], v[19:20]
	v_fma_f64 v[21:22], v[37:38], s[20:21], v[41:42]
	v_add_f64 v[19:20], v[35:36], v[13:14]
	v_add_f64 v[9:10], v[25:26], -v[9:10]
	v_add_f64 v[11:12], v[27:28], -v[11:12]
	v_fma_f64 v[5:6], v[23:24], s[14:15], v[15:16]
	v_fma_f64 v[15:16], v[37:38], s[20:21], v[45:46]
	v_mad_u32_u24 v37, v1, s1, v3
	v_fma_f64 v[13:14], v[39:40], s[14:15], v[21:22]
	v_bfe_u32 v45, v0, 3, 3
	s_movk_i32 s1, 0x60
	v_fma_f64 v[21:22], v[25:26], 2.0, -v[9:10]
	v_fma_f64 v[23:24], v[27:28], 2.0, -v[11:12]
	;; [unrolled: 1-line block ×8, first 2 shown]
	ds_write_b128 v37, v[21:24]
	ds_write_b128 v37, v[25:28] offset:128
	ds_write_b128 v37, v[29:32] offset:256
	;; [unrolled: 1-line block ×7, first 2 shown]
	v_mul_u32_u24_e32 v5, 3, v45
	v_lshlrev_b32_e32 v17, 4, v5
	s_waitcnt lgkmcnt(0)
	s_barrier
	global_load_dwordx4 v[5:8], v17, s[8:9]
	global_load_dwordx4 v[9:12], v17, s[8:9] offset:16
	global_load_dwordx4 v[13:16], v17, s[8:9] offset:32
	ds_read_b128 v[17:20], v3 offset:4096
	ds_read_b128 v[21:24], v3 offset:6144
	ds_read_b128 v[25:28], v3
	ds_read_b128 v[29:32], v3 offset:8192
	v_lshrrev_b32_e32 v0, 1, v0
	v_and_or_b32 v0, v0, 32, v45
	v_lshlrev_b32_e32 v0, 7, v0
	v_add3_u32 v0, 0, v0, v4
	s_waitcnt vmcnt(2) lgkmcnt(3)
	v_mul_f64 v[33:34], v[19:20], v[7:8]
	v_mul_f64 v[35:36], v[17:18], v[7:8]
	s_waitcnt lgkmcnt(2)
	v_mul_f64 v[37:38], v[23:24], v[7:8]
	v_mul_f64 v[7:8], v[21:22], v[7:8]
	s_waitcnt vmcnt(1) lgkmcnt(0)
	v_mul_f64 v[39:40], v[31:32], v[11:12]
	v_mul_f64 v[41:42], v[29:30], v[11:12]
	v_fma_f64 v[33:34], v[17:18], v[5:6], -v[33:34]
	v_fma_f64 v[35:36], v[19:20], v[5:6], v[35:36]
	v_fma_f64 v[21:22], v[21:22], v[5:6], -v[37:38]
	v_fma_f64 v[23:24], v[23:24], v[5:6], v[7:8]
	ds_read_b128 v[5:8], v3 offset:10240
	ds_read_b128 v[17:20], v3 offset:12288
	v_fma_f64 v[29:30], v[29:30], v[9:10], -v[39:40]
	v_fma_f64 v[31:32], v[31:32], v[9:10], v[41:42]
	s_waitcnt lgkmcnt(1)
	v_mul_f64 v[37:38], v[7:8], v[11:12]
	v_mul_f64 v[11:12], v[5:6], v[11:12]
	s_waitcnt vmcnt(0) lgkmcnt(0)
	v_mul_f64 v[39:40], v[19:20], v[15:16]
	v_mul_f64 v[41:42], v[17:18], v[15:16]
	v_add_f64 v[29:30], v[25:26], -v[29:30]
	v_add_f64 v[31:32], v[27:28], -v[31:32]
	v_fma_f64 v[37:38], v[5:6], v[9:10], -v[37:38]
	v_fma_f64 v[10:11], v[7:8], v[9:10], v[11:12]
	ds_read_b128 v[6:9], v3 offset:14336
	v_or_b32_e32 v5, 16, v1
	v_lshlrev_b32_e32 v12, 7, v5
	v_add3_u32 v49, 0, v12, v4
	v_fma_f64 v[39:40], v[17:18], v[13:14], -v[39:40]
	v_fma_f64 v[41:42], v[19:20], v[13:14], v[41:42]
	ds_read_b128 v[17:20], v49
	s_waitcnt lgkmcnt(1)
	v_mul_f64 v[43:44], v[8:9], v[15:16]
	s_waitcnt lgkmcnt(0)
	s_barrier
	v_add_f64 v[37:38], v[17:18], -v[37:38]
	v_fma_f64 v[43:44], v[6:7], v[13:14], -v[43:44]
	v_mul_f64 v[6:7], v[6:7], v[15:16]
	v_fma_f64 v[6:7], v[8:9], v[13:14], v[6:7]
	v_mul_u32_u24_e32 v8, 3, v1
	v_lshlrev_b32_e32 v9, 2, v5
	v_lshlrev_b32_e32 v50, 4, v8
	v_and_or_b32 v8, v9, s1, v45
	v_lshlrev_b32_e32 v8, 7, v8
	v_add3_u32 v4, 0, v8, v4
	v_add_f64 v[8:9], v[33:34], -v[39:40]
	v_add_f64 v[12:13], v[35:36], -v[41:42]
	v_add_f64 v[39:40], v[19:20], -v[10:11]
	v_add_f64 v[41:42], v[21:22], -v[43:44]
	v_add_f64 v[10:11], v[23:24], -v[6:7]
	v_fma_f64 v[43:44], v[25:26], 2.0, -v[29:30]
	v_fma_f64 v[45:46], v[27:28], 2.0, -v[31:32]
	s_lshl_b64 s[0:1], s[12:13], 4
	v_fma_f64 v[14:15], v[33:34], 2.0, -v[8:9]
	v_fma_f64 v[25:26], v[35:36], 2.0, -v[12:13]
	;; [unrolled: 1-line block ×6, first 2 shown]
	v_add_f64 v[6:7], v[29:30], -v[12:13]
	v_add_f64 v[8:9], v[31:32], v[8:9]
	v_add_f64 v[14:15], v[43:44], -v[14:15]
	v_add_f64 v[16:17], v[45:46], -v[25:26]
	v_add_f64 v[10:11], v[37:38], -v[10:11]
	v_add_f64 v[12:13], v[39:40], v[41:42]
	v_add_f64 v[18:19], v[34:35], -v[18:19]
	v_add_f64 v[20:21], v[47:48], -v[20:21]
	v_fma_f64 v[22:23], v[29:30], 2.0, -v[6:7]
	v_fma_f64 v[24:25], v[31:32], 2.0, -v[8:9]
	;; [unrolled: 1-line block ×8, first 2 shown]
	ds_write_b128 v0, v[6:9] offset:3072
	ds_write_b128 v0, v[22:25] offset:1024
	;; [unrolled: 1-line block ×3, first 2 shown]
	ds_write_b128 v0, v[30:33]
	ds_write_b128 v4, v[34:37]
	ds_write_b128 v4, v[26:29] offset:1024
	ds_write_b128 v4, v[18:21] offset:2048
	;; [unrolled: 1-line block ×3, first 2 shown]
	s_waitcnt lgkmcnt(0)
	s_barrier
	global_load_dwordx4 v[6:9], v50, s[8:9] offset:384
	global_load_dwordx4 v[10:13], v50, s[8:9] offset:400
	global_load_dwordx4 v[14:17], v50, s[8:9] offset:416
	v_mul_u32_u24_e32 v0, 3, v5
	v_lshlrev_b32_e32 v0, 4, v0
	global_load_dwordx4 v[18:21], v0, s[8:9] offset:384
	ds_read_b128 v[22:25], v3 offset:4096
	ds_read_b128 v[26:29], v3
	ds_read_b128 v[30:33], v3 offset:8192
	ds_read_b128 v[34:37], v3 offset:6144
	v_mul_lo_u32 v46, v1, s6
	s_add_u32 s2, s2, s0
	s_addc_u32 s3, s3, s1
	s_lshl_b64 s[0:1], s[10:11], 4
	s_add_u32 s0, s2, s0
	v_mov_b32_e32 v47, 0
	s_addc_u32 s1, s3, s1
	s_lshl_b32 s2, s6, 5
	s_waitcnt vmcnt(3) lgkmcnt(3)
	v_mul_f64 v[38:39], v[24:25], v[8:9]
	v_mul_f64 v[8:9], v[22:23], v[8:9]
	s_waitcnt vmcnt(2) lgkmcnt(1)
	v_mul_f64 v[40:41], v[32:33], v[12:13]
	v_mul_f64 v[12:13], v[30:31], v[12:13]
	v_fma_f64 v[22:23], v[22:23], v[6:7], -v[38:39]
	v_fma_f64 v[24:25], v[24:25], v[6:7], v[8:9]
	ds_read_b128 v[6:9], v3 offset:12288
	v_fma_f64 v[30:31], v[30:31], v[10:11], -v[40:41]
	v_fma_f64 v[32:33], v[32:33], v[10:11], v[12:13]
	ds_read_b128 v[10:13], v3 offset:10240
	s_waitcnt vmcnt(1) lgkmcnt(1)
	v_mul_f64 v[38:39], v[8:9], v[16:17]
	v_mul_f64 v[16:17], v[6:7], v[16:17]
	v_fma_f64 v[38:39], v[6:7], v[14:15], -v[38:39]
	v_fma_f64 v[40:41], v[8:9], v[14:15], v[16:17]
	global_load_dwordx4 v[6:9], v0, s[8:9] offset:400
	s_waitcnt vmcnt(1)
	v_mul_f64 v[14:15], v[36:37], v[20:21]
	v_mul_f64 v[16:17], v[34:35], v[20:21]
	v_fma_f64 v[34:35], v[34:35], v[18:19], -v[14:15]
	v_fma_f64 v[36:37], v[36:37], v[18:19], v[16:17]
	global_load_dwordx4 v[14:17], v0, s[8:9] offset:416
	ds_read_b128 v[18:21], v3 offset:14336
	s_waitcnt vmcnt(1) lgkmcnt(1)
	v_mul_f64 v[42:43], v[12:13], v[8:9]
	v_mul_f64 v[8:9], v[10:11], v[8:9]
	v_fma_f64 v[42:43], v[10:11], v[6:7], -v[42:43]
	v_fma_f64 v[44:45], v[12:13], v[6:7], v[8:9]
	ds_read_b128 v[6:9], v49
	s_waitcnt vmcnt(0) lgkmcnt(1)
	v_mul_f64 v[3:4], v[20:21], v[16:17]
	v_mul_f64 v[10:11], v[18:19], v[16:17]
	v_or_b32_e32 v12, s22, v2
	v_fma_f64 v[16:17], v[18:19], v[14:15], -v[3:4]
	v_mad_u64_u32 v[2:3], s[8:9], s4, v12, 0
	v_fma_f64 v[14:15], v[20:21], v[14:15], v[10:11]
	v_add_f64 v[20:21], v[26:27], -v[30:31]
	v_mov_b32_e32 v0, v3
	v_mad_u64_u32 v[0:1], s[4:5], s5, v12, v[0:1]
	v_add_f64 v[30:31], v[28:29], -v[32:33]
	v_lshlrev_b64 v[10:11], 4, v[46:47]
	v_mov_b32_e32 v3, v0
	v_lshlrev_b64 v[0:1], 4, v[2:3]
	v_mov_b32_e32 v2, s1
	v_add_co_u32_e32 v52, vcc, s0, v0
	v_addc_co_u32_e32 v53, vcc, v2, v1, vcc
	v_add_co_u32_e32 v18, vcc, v52, v10
	v_addc_co_u32_e32 v19, vcc, v53, v11, vcc
	v_fma_f64 v[10:11], v[26:27], 2.0, -v[20:21]
	v_fma_f64 v[12:13], v[28:29], 2.0, -v[30:31]
	v_add_f64 v[26:27], v[22:23], -v[38:39]
	v_add_f64 v[28:29], v[24:25], -v[40:41]
	v_add_u32_e32 v46, s2, v46
	v_lshlrev_b64 v[0:1], 4, v[46:47]
	v_add_u32_e32 v46, s2, v46
	v_add_co_u32_e32 v48, vcc, v52, v0
	v_addc_co_u32_e32 v49, vcc, v53, v1, vcc
	v_lshlrev_b64 v[0:1], 4, v[46:47]
	v_fma_f64 v[2:3], v[24:25], 2.0, -v[28:29]
	v_add_co_u32_e32 v50, vcc, v52, v0
	v_addc_co_u32_e32 v51, vcc, v53, v1, vcc
	v_fma_f64 v[0:1], v[22:23], 2.0, -v[26:27]
	v_add_u32_e32 v46, s2, v46
	v_lshlrev_b64 v[22:23], 4, v[46:47]
	v_add_f64 v[2:3], v[12:13], -v[2:3]
	v_add_co_u32_e32 v32, vcc, v52, v22
	v_addc_co_u32_e32 v33, vcc, v53, v23, vcc
	v_add_f64 v[0:1], v[10:11], -v[0:1]
	s_waitcnt lgkmcnt(0)
	v_add_f64 v[22:23], v[6:7], -v[42:43]
	v_add_f64 v[24:25], v[8:9], -v[44:45]
	v_fma_f64 v[12:13], v[12:13], 2.0, -v[2:3]
	v_add_f64 v[16:17], v[34:35], -v[16:17]
	v_add_f64 v[14:15], v[36:37], -v[14:15]
	v_mul_lo_u32 v46, v5, s6
	v_add_f64 v[4:5], v[20:21], -v[28:29]
	v_fma_f64 v[10:11], v[10:11], 2.0, -v[0:1]
	v_fma_f64 v[38:39], v[6:7], 2.0, -v[22:23]
	;; [unrolled: 1-line block ×3, first 2 shown]
	v_add_f64 v[6:7], v[30:31], v[26:27]
	v_add_f64 v[8:9], v[22:23], -v[14:15]
	global_store_dwordx4 v[18:19], v[10:13], off
	s_nop 0
	v_fma_f64 v[12:13], v[34:35], 2.0, -v[16:17]
	v_fma_f64 v[34:35], v[36:37], 2.0, -v[14:15]
	v_add_f64 v[10:11], v[24:25], v[16:17]
	v_lshlrev_b64 v[18:19], 4, v[46:47]
	v_fma_f64 v[16:17], v[20:21], 2.0, -v[4:5]
	v_add_co_u32_e32 v28, vcc, v52, v18
	v_addc_co_u32_e32 v29, vcc, v53, v19, vcc
	v_add_f64 v[12:13], v[38:39], -v[12:13]
	v_add_f64 v[14:15], v[40:41], -v[34:35]
	v_fma_f64 v[18:19], v[30:31], 2.0, -v[6:7]
	v_fma_f64 v[20:21], v[22:23], 2.0, -v[8:9]
	;; [unrolled: 1-line block ×3, first 2 shown]
	v_add_u32_e32 v46, s2, v46
	v_lshlrev_b64 v[36:37], 4, v[46:47]
	v_add_u32_e32 v46, s2, v46
	v_fma_f64 v[24:25], v[38:39], 2.0, -v[12:13]
	v_fma_f64 v[26:27], v[40:41], 2.0, -v[14:15]
	v_add_co_u32_e32 v30, vcc, v52, v36
	v_addc_co_u32_e32 v31, vcc, v53, v37, vcc
	global_store_dwordx4 v[48:49], v[16:19], off
	global_store_dwordx4 v[50:51], v[0:3], off
	;; [unrolled: 1-line block ×5, first 2 shown]
	v_lshlrev_b64 v[0:1], 4, v[46:47]
	v_add_u32_e32 v46, s2, v46
	v_add_co_u32_e32 v0, vcc, v52, v0
	v_addc_co_u32_e32 v1, vcc, v53, v1, vcc
	global_store_dwordx4 v[0:1], v[12:15], off
	v_lshlrev_b64 v[0:1], 4, v[46:47]
	v_add_co_u32_e32 v0, vcc, v52, v0
	v_addc_co_u32_e32 v1, vcc, v53, v1, vcc
	global_store_dwordx4 v[0:1], v[8:11], off
	s_endpgm
	.section	.rodata,"a",@progbits
	.p2align	6, 0x0
	.amdhsa_kernel fft_rtc_fwd_len128_factors_8_4_4_wgs_128_tpt_16_dp_op_CI_CI_sbrc_xy_z_diag_dirReg
		.amdhsa_group_segment_fixed_size 0
		.amdhsa_private_segment_fixed_size 0
		.amdhsa_kernarg_size 104
		.amdhsa_user_sgpr_count 6
		.amdhsa_user_sgpr_private_segment_buffer 1
		.amdhsa_user_sgpr_dispatch_ptr 0
		.amdhsa_user_sgpr_queue_ptr 0
		.amdhsa_user_sgpr_kernarg_segment_ptr 1
		.amdhsa_user_sgpr_dispatch_id 0
		.amdhsa_user_sgpr_flat_scratch_init 0
		.amdhsa_user_sgpr_private_segment_size 0
		.amdhsa_uses_dynamic_stack 0
		.amdhsa_system_sgpr_private_segment_wavefront_offset 0
		.amdhsa_system_sgpr_workgroup_id_x 1
		.amdhsa_system_sgpr_workgroup_id_y 0
		.amdhsa_system_sgpr_workgroup_id_z 0
		.amdhsa_system_sgpr_workgroup_info 0
		.amdhsa_system_vgpr_workitem_id 0
		.amdhsa_next_free_vgpr 54
		.amdhsa_next_free_sgpr 26
		.amdhsa_reserve_vcc 1
		.amdhsa_reserve_flat_scratch 0
		.amdhsa_float_round_mode_32 0
		.amdhsa_float_round_mode_16_64 0
		.amdhsa_float_denorm_mode_32 3
		.amdhsa_float_denorm_mode_16_64 3
		.amdhsa_dx10_clamp 1
		.amdhsa_ieee_mode 1
		.amdhsa_fp16_overflow 0
		.amdhsa_exception_fp_ieee_invalid_op 0
		.amdhsa_exception_fp_denorm_src 0
		.amdhsa_exception_fp_ieee_div_zero 0
		.amdhsa_exception_fp_ieee_overflow 0
		.amdhsa_exception_fp_ieee_underflow 0
		.amdhsa_exception_fp_ieee_inexact 0
		.amdhsa_exception_int_div_zero 0
	.end_amdhsa_kernel
	.text
.Lfunc_end0:
	.size	fft_rtc_fwd_len128_factors_8_4_4_wgs_128_tpt_16_dp_op_CI_CI_sbrc_xy_z_diag_dirReg, .Lfunc_end0-fft_rtc_fwd_len128_factors_8_4_4_wgs_128_tpt_16_dp_op_CI_CI_sbrc_xy_z_diag_dirReg
                                        ; -- End function
	.section	.AMDGPU.csdata,"",@progbits
; Kernel info:
; codeLenInByte = 2964
; NumSgprs: 30
; NumVgprs: 54
; ScratchSize: 0
; MemoryBound: 0
; FloatMode: 240
; IeeeMode: 1
; LDSByteSize: 0 bytes/workgroup (compile time only)
; SGPRBlocks: 3
; VGPRBlocks: 13
; NumSGPRsForWavesPerEU: 30
; NumVGPRsForWavesPerEU: 54
; Occupancy: 4
; WaveLimiterHint : 1
; COMPUTE_PGM_RSRC2:SCRATCH_EN: 0
; COMPUTE_PGM_RSRC2:USER_SGPR: 6
; COMPUTE_PGM_RSRC2:TRAP_HANDLER: 0
; COMPUTE_PGM_RSRC2:TGID_X_EN: 1
; COMPUTE_PGM_RSRC2:TGID_Y_EN: 0
; COMPUTE_PGM_RSRC2:TGID_Z_EN: 0
; COMPUTE_PGM_RSRC2:TIDIG_COMP_CNT: 0
	.type	__hip_cuid_43ad1d5685c6d853,@object ; @__hip_cuid_43ad1d5685c6d853
	.section	.bss,"aw",@nobits
	.globl	__hip_cuid_43ad1d5685c6d853
__hip_cuid_43ad1d5685c6d853:
	.byte	0                               ; 0x0
	.size	__hip_cuid_43ad1d5685c6d853, 1

	.ident	"AMD clang version 19.0.0git (https://github.com/RadeonOpenCompute/llvm-project roc-6.4.0 25133 c7fe45cf4b819c5991fe208aaa96edf142730f1d)"
	.section	".note.GNU-stack","",@progbits
	.addrsig
	.addrsig_sym __hip_cuid_43ad1d5685c6d853
	.amdgpu_metadata
---
amdhsa.kernels:
  - .args:
      - .actual_access:  read_only
        .address_space:  global
        .offset:         0
        .size:           8
        .value_kind:     global_buffer
      - .offset:         8
        .size:           8
        .value_kind:     by_value
      - .actual_access:  read_only
        .address_space:  global
        .offset:         16
        .size:           8
        .value_kind:     global_buffer
      - .actual_access:  read_only
        .address_space:  global
        .offset:         24
        .size:           8
        .value_kind:     global_buffer
      - .actual_access:  read_only
        .address_space:  global
        .offset:         32
        .size:           8
        .value_kind:     global_buffer
      - .offset:         40
        .size:           8
        .value_kind:     by_value
      - .actual_access:  read_only
        .address_space:  global
        .offset:         48
        .size:           8
        .value_kind:     global_buffer
      - .actual_access:  read_only
        .address_space:  global
        .offset:         56
        .size:           8
        .value_kind:     global_buffer
      - .offset:         64
        .size:           4
        .value_kind:     by_value
      - .actual_access:  read_only
        .address_space:  global
        .offset:         72
        .size:           8
        .value_kind:     global_buffer
      - .actual_access:  read_only
        .address_space:  global
        .offset:         80
        .size:           8
        .value_kind:     global_buffer
      - .actual_access:  read_only
        .address_space:  global
        .offset:         88
        .size:           8
        .value_kind:     global_buffer
      - .actual_access:  write_only
        .address_space:  global
        .offset:         96
        .size:           8
        .value_kind:     global_buffer
    .group_segment_fixed_size: 0
    .kernarg_segment_align: 8
    .kernarg_segment_size: 104
    .language:       OpenCL C
    .language_version:
      - 2
      - 0
    .max_flat_workgroup_size: 128
    .name:           fft_rtc_fwd_len128_factors_8_4_4_wgs_128_tpt_16_dp_op_CI_CI_sbrc_xy_z_diag_dirReg
    .private_segment_fixed_size: 0
    .sgpr_count:     30
    .sgpr_spill_count: 0
    .symbol:         fft_rtc_fwd_len128_factors_8_4_4_wgs_128_tpt_16_dp_op_CI_CI_sbrc_xy_z_diag_dirReg.kd
    .uniform_work_group_size: 1
    .uses_dynamic_stack: false
    .vgpr_count:     54
    .vgpr_spill_count: 0
    .wavefront_size: 64
amdhsa.target:   amdgcn-amd-amdhsa--gfx906
amdhsa.version:
  - 1
  - 2
...

	.end_amdgpu_metadata
